;; amdgpu-corpus repo=ROCm/rocFFT kind=compiled arch=gfx906 opt=O3
	.text
	.amdgcn_target "amdgcn-amd-amdhsa--gfx906"
	.amdhsa_code_object_version 6
	.protected	fft_rtc_fwd_len784_factors_2_2_2_2_7_7_wgs_56_tpt_56_halfLds_dp_ip_CI_sbrr_dirReg ; -- Begin function fft_rtc_fwd_len784_factors_2_2_2_2_7_7_wgs_56_tpt_56_halfLds_dp_ip_CI_sbrr_dirReg
	.globl	fft_rtc_fwd_len784_factors_2_2_2_2_7_7_wgs_56_tpt_56_halfLds_dp_ip_CI_sbrr_dirReg
	.p2align	8
	.type	fft_rtc_fwd_len784_factors_2_2_2_2_7_7_wgs_56_tpt_56_halfLds_dp_ip_CI_sbrr_dirReg,@function
fft_rtc_fwd_len784_factors_2_2_2_2_7_7_wgs_56_tpt_56_halfLds_dp_ip_CI_sbrr_dirReg: ; @fft_rtc_fwd_len784_factors_2_2_2_2_7_7_wgs_56_tpt_56_halfLds_dp_ip_CI_sbrr_dirReg
; %bb.0:
	s_load_dwordx2 s[14:15], s[4:5], 0x18
	s_load_dwordx4 s[8:11], s[4:5], 0x0
	s_load_dwordx2 s[12:13], s[4:5], 0x50
	v_mul_u32_u24_e32 v1, 0x493, v0
	v_add_u32_sdwa v5, s6, v1 dst_sel:DWORD dst_unused:UNUSED_PAD src0_sel:DWORD src1_sel:WORD_1
	s_waitcnt lgkmcnt(0)
	s_load_dwordx2 s[2:3], s[14:15], 0x0
	v_cmp_lt_u64_e64 s[0:1], s[10:11], 2
	v_mov_b32_e32 v3, 0
	v_mov_b32_e32 v1, 0
	;; [unrolled: 1-line block ×3, first 2 shown]
	s_and_b64 vcc, exec, s[0:1]
	v_mov_b32_e32 v2, 0
	s_cbranch_vccnz .LBB0_8
; %bb.1:
	s_load_dwordx2 s[0:1], s[4:5], 0x10
	s_add_u32 s6, s14, 8
	s_addc_u32 s7, s15, 0
	v_mov_b32_e32 v1, 0
	v_mov_b32_e32 v2, 0
	s_waitcnt lgkmcnt(0)
	s_add_u32 s16, s0, 8
	s_addc_u32 s17, s1, 0
	s_mov_b64 s[18:19], 1
.LBB0_2:                                ; =>This Inner Loop Header: Depth=1
	s_load_dwordx2 s[20:21], s[16:17], 0x0
                                        ; implicit-def: $vgpr7_vgpr8
	s_waitcnt lgkmcnt(0)
	v_or_b32_e32 v4, s21, v6
	v_cmp_ne_u64_e32 vcc, 0, v[3:4]
	s_and_saveexec_b64 s[0:1], vcc
	s_xor_b64 s[22:23], exec, s[0:1]
	s_cbranch_execz .LBB0_4
; %bb.3:                                ;   in Loop: Header=BB0_2 Depth=1
	v_cvt_f32_u32_e32 v4, s20
	v_cvt_f32_u32_e32 v7, s21
	s_sub_u32 s0, 0, s20
	s_subb_u32 s1, 0, s21
	v_mac_f32_e32 v4, 0x4f800000, v7
	v_rcp_f32_e32 v4, v4
	v_mul_f32_e32 v4, 0x5f7ffffc, v4
	v_mul_f32_e32 v7, 0x2f800000, v4
	v_trunc_f32_e32 v7, v7
	v_mac_f32_e32 v4, 0xcf800000, v7
	v_cvt_u32_f32_e32 v7, v7
	v_cvt_u32_f32_e32 v4, v4
	v_mul_lo_u32 v8, s0, v7
	v_mul_hi_u32 v9, s0, v4
	v_mul_lo_u32 v11, s1, v4
	v_mul_lo_u32 v10, s0, v4
	v_add_u32_e32 v8, v9, v8
	v_add_u32_e32 v8, v8, v11
	v_mul_hi_u32 v9, v4, v10
	v_mul_lo_u32 v11, v4, v8
	v_mul_hi_u32 v13, v4, v8
	v_mul_hi_u32 v12, v7, v10
	v_mul_lo_u32 v10, v7, v10
	v_mul_hi_u32 v14, v7, v8
	v_add_co_u32_e32 v9, vcc, v9, v11
	v_addc_co_u32_e32 v11, vcc, 0, v13, vcc
	v_mul_lo_u32 v8, v7, v8
	v_add_co_u32_e32 v9, vcc, v9, v10
	v_addc_co_u32_e32 v9, vcc, v11, v12, vcc
	v_addc_co_u32_e32 v10, vcc, 0, v14, vcc
	v_add_co_u32_e32 v8, vcc, v9, v8
	v_addc_co_u32_e32 v9, vcc, 0, v10, vcc
	v_add_co_u32_e32 v4, vcc, v4, v8
	v_addc_co_u32_e32 v7, vcc, v7, v9, vcc
	v_mul_lo_u32 v8, s0, v7
	v_mul_hi_u32 v9, s0, v4
	v_mul_lo_u32 v10, s1, v4
	v_mul_lo_u32 v11, s0, v4
	v_add_u32_e32 v8, v9, v8
	v_add_u32_e32 v8, v8, v10
	v_mul_lo_u32 v12, v4, v8
	v_mul_hi_u32 v13, v4, v11
	v_mul_hi_u32 v14, v4, v8
	;; [unrolled: 1-line block ×3, first 2 shown]
	v_mul_lo_u32 v11, v7, v11
	v_mul_hi_u32 v9, v7, v8
	v_add_co_u32_e32 v12, vcc, v13, v12
	v_addc_co_u32_e32 v13, vcc, 0, v14, vcc
	v_mul_lo_u32 v8, v7, v8
	v_add_co_u32_e32 v11, vcc, v12, v11
	v_addc_co_u32_e32 v10, vcc, v13, v10, vcc
	v_addc_co_u32_e32 v9, vcc, 0, v9, vcc
	v_add_co_u32_e32 v8, vcc, v10, v8
	v_addc_co_u32_e32 v9, vcc, 0, v9, vcc
	v_add_co_u32_e32 v4, vcc, v4, v8
	v_addc_co_u32_e32 v9, vcc, v7, v9, vcc
	v_mad_u64_u32 v[7:8], s[0:1], v5, v9, 0
	v_mul_hi_u32 v10, v5, v4
	v_add_co_u32_e32 v11, vcc, v10, v7
	v_addc_co_u32_e32 v12, vcc, 0, v8, vcc
	v_mad_u64_u32 v[7:8], s[0:1], v6, v4, 0
	v_mad_u64_u32 v[9:10], s[0:1], v6, v9, 0
	v_add_co_u32_e32 v4, vcc, v11, v7
	v_addc_co_u32_e32 v4, vcc, v12, v8, vcc
	v_addc_co_u32_e32 v7, vcc, 0, v10, vcc
	v_add_co_u32_e32 v4, vcc, v4, v9
	v_addc_co_u32_e32 v9, vcc, 0, v7, vcc
	v_mul_lo_u32 v10, s21, v4
	v_mul_lo_u32 v11, s20, v9
	v_mad_u64_u32 v[7:8], s[0:1], s20, v4, 0
	v_add3_u32 v8, v8, v11, v10
	v_sub_u32_e32 v10, v6, v8
	v_mov_b32_e32 v11, s21
	v_sub_co_u32_e32 v7, vcc, v5, v7
	v_subb_co_u32_e64 v10, s[0:1], v10, v11, vcc
	v_subrev_co_u32_e64 v11, s[0:1], s20, v7
	v_subbrev_co_u32_e64 v10, s[0:1], 0, v10, s[0:1]
	v_cmp_le_u32_e64 s[0:1], s21, v10
	v_cndmask_b32_e64 v12, 0, -1, s[0:1]
	v_cmp_le_u32_e64 s[0:1], s20, v11
	v_cndmask_b32_e64 v11, 0, -1, s[0:1]
	v_cmp_eq_u32_e64 s[0:1], s21, v10
	v_cndmask_b32_e64 v10, v12, v11, s[0:1]
	v_add_co_u32_e64 v11, s[0:1], 2, v4
	v_addc_co_u32_e64 v12, s[0:1], 0, v9, s[0:1]
	v_add_co_u32_e64 v13, s[0:1], 1, v4
	v_addc_co_u32_e64 v14, s[0:1], 0, v9, s[0:1]
	v_subb_co_u32_e32 v8, vcc, v6, v8, vcc
	v_cmp_ne_u32_e64 s[0:1], 0, v10
	v_cmp_le_u32_e32 vcc, s21, v8
	v_cndmask_b32_e64 v10, v14, v12, s[0:1]
	v_cndmask_b32_e64 v12, 0, -1, vcc
	v_cmp_le_u32_e32 vcc, s20, v7
	v_cndmask_b32_e64 v7, 0, -1, vcc
	v_cmp_eq_u32_e32 vcc, s21, v8
	v_cndmask_b32_e32 v7, v12, v7, vcc
	v_cmp_ne_u32_e32 vcc, 0, v7
	v_cndmask_b32_e64 v7, v13, v11, s[0:1]
	v_cndmask_b32_e32 v8, v9, v10, vcc
	v_cndmask_b32_e32 v7, v4, v7, vcc
.LBB0_4:                                ;   in Loop: Header=BB0_2 Depth=1
	s_andn2_saveexec_b64 s[0:1], s[22:23]
	s_cbranch_execz .LBB0_6
; %bb.5:                                ;   in Loop: Header=BB0_2 Depth=1
	v_cvt_f32_u32_e32 v4, s20
	s_sub_i32 s22, 0, s20
	v_rcp_iflag_f32_e32 v4, v4
	v_mul_f32_e32 v4, 0x4f7ffffe, v4
	v_cvt_u32_f32_e32 v4, v4
	v_mul_lo_u32 v7, s22, v4
	v_mul_hi_u32 v7, v4, v7
	v_add_u32_e32 v4, v4, v7
	v_mul_hi_u32 v4, v5, v4
	v_mul_lo_u32 v7, v4, s20
	v_add_u32_e32 v8, 1, v4
	v_sub_u32_e32 v7, v5, v7
	v_subrev_u32_e32 v9, s20, v7
	v_cmp_le_u32_e32 vcc, s20, v7
	v_cndmask_b32_e32 v7, v7, v9, vcc
	v_cndmask_b32_e32 v4, v4, v8, vcc
	v_add_u32_e32 v8, 1, v4
	v_cmp_le_u32_e32 vcc, s20, v7
	v_cndmask_b32_e32 v7, v4, v8, vcc
	v_mov_b32_e32 v8, v3
.LBB0_6:                                ;   in Loop: Header=BB0_2 Depth=1
	s_or_b64 exec, exec, s[0:1]
	v_mul_lo_u32 v4, v8, s20
	v_mul_lo_u32 v11, v7, s21
	v_mad_u64_u32 v[9:10], s[0:1], v7, s20, 0
	s_load_dwordx2 s[0:1], s[6:7], 0x0
	s_add_u32 s18, s18, 1
	v_add3_u32 v4, v10, v11, v4
	v_sub_co_u32_e32 v5, vcc, v5, v9
	v_subb_co_u32_e32 v4, vcc, v6, v4, vcc
	s_waitcnt lgkmcnt(0)
	v_mul_lo_u32 v4, s0, v4
	v_mul_lo_u32 v6, s1, v5
	v_mad_u64_u32 v[1:2], s[0:1], s0, v5, v[1:2]
	s_addc_u32 s19, s19, 0
	s_add_u32 s6, s6, 8
	v_add3_u32 v2, v6, v2, v4
	v_mov_b32_e32 v4, s10
	v_mov_b32_e32 v5, s11
	s_addc_u32 s7, s7, 0
	v_cmp_ge_u64_e32 vcc, s[18:19], v[4:5]
	s_add_u32 s16, s16, 8
	s_addc_u32 s17, s17, 0
	s_cbranch_vccnz .LBB0_9
; %bb.7:                                ;   in Loop: Header=BB0_2 Depth=1
	v_mov_b32_e32 v5, v7
	v_mov_b32_e32 v6, v8
	s_branch .LBB0_2
.LBB0_8:
	v_mov_b32_e32 v8, v6
	v_mov_b32_e32 v7, v5
.LBB0_9:
	s_lshl_b64 s[0:1], s[10:11], 3
	s_add_u32 s0, s14, s0
	s_addc_u32 s1, s15, s1
	s_load_dwordx2 s[6:7], s[0:1], 0x0
	s_load_dwordx2 s[10:11], s[4:5], 0x20
                                        ; implicit-def: $vgpr60
                                        ; implicit-def: $vgpr61
                                        ; implicit-def: $vgpr62
                                        ; implicit-def: $vgpr63
                                        ; implicit-def: $vgpr64
                                        ; implicit-def: $vgpr65
	s_waitcnt lgkmcnt(0)
	v_mad_u64_u32 v[1:2], s[0:1], s6, v7, v[1:2]
	s_mov_b32 s0, 0x4924925
	v_mul_lo_u32 v3, s6, v8
	v_mul_lo_u32 v4, s7, v7
	v_mul_hi_u32 v5, v0, s0
	v_cmp_gt_u64_e32 vcc, s[10:11], v[7:8]
	v_cmp_le_u64_e64 s[0:1], s[10:11], v[7:8]
	v_add3_u32 v2, v4, v2, v3
	v_mul_u32_u24_e32 v3, 56, v5
	v_sub_u32_e32 v59, v0, v3
	v_add_u32_e32 v58, 56, v59
	s_and_saveexec_b64 s[4:5], s[0:1]
	s_xor_b64 s[0:1], exec, s[4:5]
; %bb.10:
	v_add_u32_e32 v60, 56, v59
	v_add_u32_e32 v61, 0x70, v59
	;; [unrolled: 1-line block ×6, first 2 shown]
; %bb.11:
	s_or_saveexec_b64 s[4:5], s[0:1]
	v_lshlrev_b64 v[56:57], 4, v[1:2]
                                        ; implicit-def: $vgpr18_vgpr19
                                        ; implicit-def: $vgpr2_vgpr3
                                        ; implicit-def: $vgpr22_vgpr23
                                        ; implicit-def: $vgpr6_vgpr7
                                        ; implicit-def: $vgpr26_vgpr27
                                        ; implicit-def: $vgpr10_vgpr11
                                        ; implicit-def: $vgpr34_vgpr35
                                        ; implicit-def: $vgpr14_vgpr15
                                        ; implicit-def: $vgpr46_vgpr47
                                        ; implicit-def: $vgpr30_vgpr31
                                        ; implicit-def: $vgpr50_vgpr51
                                        ; implicit-def: $vgpr38_vgpr39
                                        ; implicit-def: $vgpr54_vgpr55
                                        ; implicit-def: $vgpr42_vgpr43
	s_xor_b64 exec, exec, s[4:5]
	s_cbranch_execz .LBB0_13
; %bb.12:
	v_mad_u64_u32 v[0:1], s[0:1], s2, v59, 0
	v_add_u32_e32 v5, 0x188, v59
	v_mov_b32_e32 v4, s13
	v_mad_u64_u32 v[1:2], s[0:1], s3, v59, v[1:2]
	v_mad_u64_u32 v[2:3], s[0:1], s2, v5, 0
	v_add_co_u32_e64 v8, s[0:1], s12, v56
	v_addc_co_u32_e64 v9, s[0:1], v4, v57, s[0:1]
	v_mad_u64_u32 v[3:4], s[0:1], s3, v5, v[3:4]
	v_mad_u64_u32 v[4:5], s[0:1], s2, v58, 0
	v_lshlrev_b64 v[0:1], 4, v[0:1]
	v_add_u32_e32 v61, 0x70, v59
	v_add_co_u32_e64 v66, s[0:1], v8, v0
	v_addc_co_u32_e64 v67, s[0:1], v9, v1, s[0:1]
	v_lshlrev_b64 v[0:1], 4, v[2:3]
	v_mov_b32_e32 v2, v5
	v_mad_u64_u32 v[2:3], s[0:1], s3, v58, v[2:3]
	v_or_b32_e32 v3, 0x1c0, v59
	v_mad_u64_u32 v[6:7], s[0:1], s2, v3, 0
	v_add_co_u32_e64 v68, s[0:1], v8, v0
	v_mov_b32_e32 v5, v2
	v_mov_b32_e32 v2, v7
	v_addc_co_u32_e64 v69, s[0:1], v9, v1, s[0:1]
	v_mad_u64_u32 v[2:3], s[0:1], s3, v3, v[2:3]
	v_lshlrev_b64 v[0:1], 4, v[4:5]
	v_mad_u64_u32 v[3:4], s[0:1], s2, v61, 0
	v_add_co_u32_e64 v70, s[0:1], v8, v0
	v_mov_b32_e32 v7, v2
	v_mov_b32_e32 v2, v4
	v_addc_co_u32_e64 v71, s[0:1], v9, v1, s[0:1]
	v_lshlrev_b64 v[0:1], 4, v[6:7]
	v_mad_u64_u32 v[4:5], s[0:1], s3, v61, v[2:3]
	v_add_u32_e32 v7, 0x1f8, v59
	v_mad_u64_u32 v[5:6], s[0:1], s2, v7, 0
	v_add_co_u32_e64 v72, s[0:1], v8, v0
	v_mov_b32_e32 v2, v6
	v_addc_co_u32_e64 v73, s[0:1], v9, v1, s[0:1]
	v_lshlrev_b64 v[0:1], 4, v[3:4]
	v_mad_u64_u32 v[2:3], s[0:1], s3, v7, v[2:3]
	v_add_u32_e32 v62, 0xa8, v59
	v_mad_u64_u32 v[3:4], s[0:1], s2, v62, 0
	v_add_co_u32_e64 v74, s[0:1], v8, v0
	v_mov_b32_e32 v6, v2
	v_mov_b32_e32 v2, v4
	v_addc_co_u32_e64 v75, s[0:1], v9, v1, s[0:1]
	v_lshlrev_b64 v[0:1], 4, v[5:6]
	v_mad_u64_u32 v[4:5], s[0:1], s3, v62, v[2:3]
	v_add_u32_e32 v7, 0x230, v59
	v_mad_u64_u32 v[5:6], s[0:1], s2, v7, 0
	v_add_co_u32_e64 v76, s[0:1], v8, v0
	v_mov_b32_e32 v2, v6
	v_addc_co_u32_e64 v77, s[0:1], v9, v1, s[0:1]
	v_lshlrev_b64 v[0:1], 4, v[3:4]
	v_mad_u64_u32 v[2:3], s[0:1], s3, v7, v[2:3]
	v_add_u32_e32 v63, 0xe0, v59
	;; [unrolled: 15-line block ×4, first 2 shown]
	v_mad_u64_u32 v[3:4], s[0:1], s2, v65, 0
	v_add_co_u32_e64 v86, s[0:1], v8, v0
	v_mov_b32_e32 v6, v2
	v_mov_b32_e32 v2, v4
	v_addc_co_u32_e64 v87, s[0:1], v9, v1, s[0:1]
	v_lshlrev_b64 v[0:1], 4, v[5:6]
	v_mad_u64_u32 v[4:5], s[0:1], s3, v65, v[2:3]
	v_add_u32_e32 v7, 0x2d8, v59
	v_mad_u64_u32 v[5:6], s[0:1], s2, v7, 0
	v_add_co_u32_e64 v88, s[0:1], v8, v0
	v_mov_b32_e32 v2, v6
	v_addc_co_u32_e64 v89, s[0:1], v9, v1, s[0:1]
	v_lshlrev_b64 v[0:1], 4, v[3:4]
	v_mad_u64_u32 v[2:3], s[0:1], s3, v7, v[2:3]
	v_add_co_u32_e64 v90, s[0:1], v8, v0
	v_mov_b32_e32 v6, v2
	v_addc_co_u32_e64 v91, s[0:1], v9, v1, s[0:1]
	v_lshlrev_b64 v[0:1], 4, v[5:6]
	v_mov_b32_e32 v60, v58
	v_add_co_u32_e64 v92, s[0:1], v8, v0
	v_addc_co_u32_e64 v93, s[0:1], v9, v1, s[0:1]
	global_load_dwordx4 v[40:43], v[66:67], off
	global_load_dwordx4 v[52:55], v[68:69], off
	;; [unrolled: 1-line block ×14, first 2 shown]
.LBB0_13:
	s_or_b64 exec, exec, s[4:5]
	s_waitcnt vmcnt(10)
	v_add_f64 v[72:73], v[38:39], -v[50:51]
	v_add_f64 v[68:69], v[42:43], -v[54:55]
	s_waitcnt vmcnt(8)
	v_add_f64 v[44:45], v[28:29], -v[44:45]
	v_add_f64 v[52:53], v[40:41], -v[52:53]
	;; [unrolled: 1-line block ×3, first 2 shown]
	s_waitcnt vmcnt(4)
	v_add_f64 v[24:25], v[8:9], -v[24:25]
	v_add_f64 v[80:81], v[14:15], -v[34:35]
	s_waitcnt vmcnt(2)
	v_add_f64 v[20:21], v[4:5], -v[20:21]
	v_fma_f64 v[70:71], v[38:39], 2.0, -v[72:73]
	v_add_f64 v[38:39], v[12:13], -v[32:33]
	s_waitcnt vmcnt(0)
	v_add_f64 v[16:17], v[0:1], -v[16:17]
	v_add_f64 v[76:77], v[30:31], -v[46:47]
	v_fma_f64 v[66:67], v[42:43], 2.0, -v[68:69]
	v_fma_f64 v[42:43], v[28:29], 2.0, -v[44:45]
	v_add_f64 v[28:29], v[10:11], -v[26:27]
	v_add_f64 v[84:85], v[6:7], -v[22:23]
	v_fma_f64 v[50:51], v[40:41], 2.0, -v[52:53]
	v_fma_f64 v[46:47], v[36:37], 2.0, -v[48:49]
	v_add_f64 v[88:89], v[2:3], -v[18:19]
	v_fma_f64 v[36:37], v[12:13], 2.0, -v[38:39]
	v_fma_f64 v[22:23], v[8:9], 2.0, -v[24:25]
	;; [unrolled: 1-line block ×8, first 2 shown]
	v_lshl_add_u32 v32, v59, 4, 0
	v_lshl_add_u32 v34, v60, 4, 0
	;; [unrolled: 1-line block ×5, first 2 shown]
	v_fma_f64 v[86:87], v[2:3], 2.0, -v[88:89]
	ds_write_b128 v32, v[50:53]
	ds_write_b128 v34, v[46:49]
	;; [unrolled: 1-line block ×5, first 2 shown]
	v_lshl_add_u32 v22, v64, 4, 0
	v_lshl_add_u32 v36, v65, 4, 0
	v_lshlrev_b32_e32 v37, 3, v59
	v_lshlrev_b32_e32 v0, 3, v62
	v_and_b32_e32 v31, 1, v59
	ds_write_b128 v22, v[18:21]
	ds_write_b128 v36, v[14:17]
	v_sub_u32_e32 v44, v32, v37
	v_lshlrev_b32_e32 v38, 3, v60
	v_lshlrev_b32_e32 v39, 3, v61
	v_sub_u32_e32 v0, v30, v0
	v_lshlrev_b32_e32 v40, 3, v63
	v_lshlrev_b32_e32 v1, 3, v64
	;; [unrolled: 1-line block ×4, first 2 shown]
	s_waitcnt lgkmcnt(0)
	; wave barrier
	s_waitcnt lgkmcnt(0)
	ds_read_b64 v[49:50], v44
	v_add_u32_e32 v42, 0x800, v44
	v_sub_u32_e32 v43, v34, v38
	v_sub_u32_e32 v45, v35, v39
	v_add_u32_e32 v2, 0xc00, v44
	v_sub_u32_e32 v46, v33, v40
	v_add_u32_e32 v47, 0x1000, v44
	v_sub_u32_e32 v1, v22, v1
	v_sub_u32_e32 v48, v36, v41
	ds_read_b64 v[51:52], v0
	ds_read_b64 v[53:54], v46
	ds_read_b64 v[90:91], v1
	ds_read_b64 v[92:93], v48
	ds_read_b64 v[94:95], v45
	ds_read_b64 v[96:97], v43
	ds_read_b64 v[98:99], v44 offset:5824
	ds_read2_b64 v[3:6], v42 offset0:136 offset1:192
	ds_read2_b64 v[7:10], v2 offset0:120 offset1:176
	;; [unrolled: 1-line block ×3, first 2 shown]
	s_waitcnt lgkmcnt(0)
	; wave barrier
	s_waitcnt lgkmcnt(0)
	ds_write_b128 v32, v[66:69]
	ds_write_b128 v34, v[70:73]
	ds_write_b128 v35, v[74:77]
	ds_write_b128 v30, v[78:81]
	ds_write_b128 v33, v[26:29]
	ds_write_b128 v22, v[82:85]
	ds_write_b128 v36, v[86:89]
	s_waitcnt lgkmcnt(0)
	; wave barrier
	s_waitcnt lgkmcnt(0)
	global_load_dwordx4 v[15:18], v15, s[8:9]
	ds_read2_b64 v[19:22], v42 offset0:136 offset1:192
	ds_read2_b64 v[23:26], v2 offset0:120 offset1:176
	;; [unrolled: 1-line block ×3, first 2 shown]
	s_movk_i32 s0, 0x7c
	s_movk_i32 s1, 0x2fc
	;; [unrolled: 1-line block ×3, first 2 shown]
	s_mov_b32 s4, 0x37e14327
	s_mov_b32 s14, 0xe976ee23
	;; [unrolled: 1-line block ×18, first 2 shown]
	s_waitcnt vmcnt(0)
	v_mul_f64 v[70:71], v[3:4], v[17:18]
	s_waitcnt lgkmcnt(2)
	v_mul_f64 v[66:67], v[19:20], v[17:18]
	v_mul_f64 v[68:69], v[21:22], v[17:18]
	;; [unrolled: 1-line block ×3, first 2 shown]
	s_waitcnt lgkmcnt(1)
	v_mul_f64 v[74:75], v[23:24], v[17:18]
	v_mul_f64 v[76:77], v[25:26], v[17:18]
	v_mul_f64 v[78:79], v[7:8], v[17:18]
	v_mul_f64 v[80:81], v[9:10], v[17:18]
	v_fma_f64 v[19:20], v[19:20], v[15:16], v[70:71]
	ds_read_b64 v[70:71], v44 offset:5824
	v_fma_f64 v[3:4], v[3:4], v[15:16], -v[66:67]
	s_waitcnt lgkmcnt(1)
	v_mul_f64 v[82:83], v[27:28], v[17:18]
	v_fma_f64 v[5:6], v[5:6], v[15:16], -v[68:69]
	v_fma_f64 v[21:22], v[21:22], v[15:16], v[72:73]
	v_mul_f64 v[66:67], v[29:30], v[17:18]
	v_mul_f64 v[68:69], v[11:12], v[17:18]
	;; [unrolled: 1-line block ×3, first 2 shown]
	s_waitcnt lgkmcnt(0)
	v_mul_f64 v[84:85], v[70:71], v[17:18]
	v_mul_f64 v[17:18], v[98:99], v[17:18]
	v_fma_f64 v[7:8], v[7:8], v[15:16], -v[74:75]
	v_add_f64 v[86:87], v[49:50], -v[3:4]
	v_fma_f64 v[9:10], v[9:10], v[15:16], -v[76:77]
	v_fma_f64 v[23:24], v[23:24], v[15:16], v[78:79]
	v_fma_f64 v[27:28], v[27:28], v[15:16], v[68:69]
	;; [unrolled: 1-line block ×3, first 2 shown]
	v_fma_f64 v[11:12], v[11:12], v[15:16], -v[82:83]
	v_fma_f64 v[68:69], v[70:71], v[15:16], v[17:18]
	v_add_f64 v[17:18], v[96:97], -v[5:6]
	v_fma_f64 v[13:14], v[13:14], v[15:16], -v[66:67]
	v_fma_f64 v[29:30], v[29:30], v[15:16], v[72:73]
	v_fma_f64 v[66:67], v[98:99], v[15:16], -v[84:85]
	v_fma_f64 v[15:16], v[49:50], 2.0, -v[86:87]
	v_add_f64 v[6:7], v[94:95], -v[7:8]
	v_add_f64 v[8:9], v[51:52], -v[9:10]
	v_lshlrev_b32_e32 v3, 1, v59
	v_fma_f64 v[82:83], v[96:97], 2.0, -v[17:18]
	v_and_or_b32 v4, v3, s0, v31
	v_lshl_add_u32 v55, v4, 3, 0
	ds_read_b64 v[74:75], v45
	ds_read_b64 v[76:77], v43
	;; [unrolled: 1-line block ×7, first 2 shown]
	s_waitcnt lgkmcnt(0)
	; wave barrier
	s_waitcnt lgkmcnt(0)
	ds_write2_b64 v55, v[15:16], v[86:87] offset1:2
	s_movk_i32 s0, 0xfc
	v_lshlrev_b32_e32 v5, 1, v60
	v_fma_f64 v[15:16], v[94:95], 2.0, -v[6:7]
	v_and_or_b32 v4, v5, s0, v31
	v_lshl_add_u32 v96, v4, 3, 0
	ds_write2_b64 v96, v[82:83], v[17:18] offset1:2
	v_fma_f64 v[17:18], v[51:52], 2.0, -v[8:9]
	v_add_f64 v[10:11], v[53:54], -v[11:12]
	v_lshlrev_b32_e32 v4, 1, v61
	s_movk_i32 s0, 0x1fc
	v_and_or_b32 v12, v4, s0, v31
	v_lshl_add_u32 v94, v12, 3, 0
	ds_write2_b64 v94, v[15:16], v[6:7] offset1:2
	v_lshlrev_b32_e32 v6, 1, v62
	v_and_or_b32 v7, v6, s0, v31
	v_lshl_add_u32 v95, v7, 3, 0
	ds_write2_b64 v95, v[17:18], v[8:9] offset1:2
	v_fma_f64 v[8:9], v[53:54], 2.0, -v[10:11]
	v_add_f64 v[12:13], v[90:91], -v[13:14]
	v_lshlrev_b32_e32 v7, 1, v63
	s_movk_i32 s0, 0x3fc
	v_and_or_b32 v16, v7, s0, v31
	v_add_f64 v[14:15], v[92:93], -v[66:67]
	v_lshl_add_u32 v97, v16, 3, 0
	v_add_f64 v[51:52], v[78:79], -v[19:20]
	ds_write2_b64 v97, v[8:9], v[10:11] offset1:2
	v_fma_f64 v[10:11], v[90:91], 2.0, -v[12:13]
	v_add_f64 v[90:91], v[76:77], -v[21:22]
	v_add_f64 v[22:23], v[74:75], -v[23:24]
	v_lshlrev_b32_e32 v9, 1, v64
	v_add_f64 v[24:25], v[49:50], -v[25:26]
	v_and_or_b32 v18, v9, s1, v31
	v_add_f64 v[26:27], v[70:71], -v[27:28]
	v_lshlrev_b32_e32 v8, 1, v65
	v_fma_f64 v[16:17], v[92:93], 2.0, -v[14:15]
	v_lshl_add_u32 v92, v18, 3, 0
	v_add_f64 v[28:29], v[72:73], -v[29:30]
	ds_write2_b64 v92, v[10:11], v[12:13] offset1:2
	v_and_or_b32 v10, v8, s0, v31
	v_add_f64 v[30:31], v[80:81], -v[68:69]
	v_fma_f64 v[53:54], v[78:79], 2.0, -v[51:52]
	v_fma_f64 v[67:68], v[76:77], 2.0, -v[90:91]
	;; [unrolled: 1-line block ×6, first 2 shown]
	v_lshl_add_u32 v93, v10, 3, 0
	v_fma_f64 v[76:77], v[80:81], 2.0, -v[30:31]
	ds_write2_b64 v93, v[16:17], v[14:15] offset1:2
	s_waitcnt lgkmcnt(0)
	; wave barrier
	s_waitcnt lgkmcnt(0)
	ds_read_b64 v[61:62], v44
	ds_read_b64 v[63:64], v0
	;; [unrolled: 1-line block ×7, first 2 shown]
	ds_read_b64 v[88:89], v44 offset:5824
	ds_read2_b64 v[10:13], v42 offset0:136 offset1:192
	ds_read2_b64 v[14:17], v2 offset0:120 offset1:176
	;; [unrolled: 1-line block ×3, first 2 shown]
	s_waitcnt lgkmcnt(0)
	; wave barrier
	s_waitcnt lgkmcnt(0)
	ds_write2_b64 v55, v[53:54], v[51:52] offset1:2
	ds_write2_b64 v96, v[67:68], v[90:91] offset1:2
	;; [unrolled: 1-line block ×7, first 2 shown]
	v_and_b32_e32 v55, 3, v59
	v_lshlrev_b32_e32 v22, 4, v55
	s_waitcnt lgkmcnt(0)
	; wave barrier
	s_waitcnt lgkmcnt(0)
	global_load_dwordx4 v[22:25], v22, s[8:9] offset:32
	ds_read2_b64 v[26:29], v42 offset0:136 offset1:192
	ds_read2_b64 v[49:52], v2 offset0:120 offset1:176
	s_movk_i32 s0, 0x78
	v_and_or_b32 v77, v3, s0, v55
	s_movk_i32 s0, 0xf8
	s_movk_i32 s1, 0x2f8
	s_waitcnt vmcnt(0) lgkmcnt(1)
	v_mul_f64 v[30:31], v[26:27], v[24:25]
	v_mul_f64 v[53:54], v[28:29], v[24:25]
	;; [unrolled: 1-line block ×5, first 2 shown]
	s_waitcnt lgkmcnt(0)
	v_mul_f64 v[71:72], v[49:50], v[24:25]
	v_mul_f64 v[73:74], v[51:52], v[24:25]
	;; [unrolled: 1-line block ×3, first 2 shown]
	v_fma_f64 v[30:31], v[10:11], v[22:23], -v[30:31]
	v_fma_f64 v[53:54], v[12:13], v[22:23], -v[53:54]
	ds_read2_b64 v[10:13], v47 offset0:104 offset1:160
	v_fma_f64 v[49:50], v[49:50], v[22:23], v[75:76]
	ds_read_b64 v[75:76], v44 offset:5824
	v_fma_f64 v[26:27], v[26:27], v[22:23], v[67:68]
	v_fma_f64 v[28:29], v[28:29], v[22:23], v[69:70]
	v_fma_f64 v[14:15], v[14:15], v[22:23], -v[71:72]
	v_fma_f64 v[67:68], v[16:17], v[22:23], -v[73:74]
	v_mul_f64 v[16:17], v[16:17], v[24:25]
	s_waitcnt lgkmcnt(1)
	v_mul_f64 v[69:70], v[10:11], v[24:25]
	v_mul_f64 v[71:72], v[12:13], v[24:25]
	;; [unrolled: 1-line block ×3, first 2 shown]
	s_waitcnt lgkmcnt(0)
	v_mul_f64 v[96:97], v[75:76], v[24:25]
	v_mul_f64 v[24:25], v[88:89], v[24:25]
	v_add_f64 v[30:31], v[61:62], -v[30:31]
	v_add_f64 v[14:15], v[84:85], -v[14:15]
	v_fma_f64 v[51:52], v[51:52], v[22:23], v[16:17]
	v_fma_f64 v[16:17], v[18:19], v[22:23], -v[69:70]
	v_fma_f64 v[18:19], v[20:21], v[22:23], -v[71:72]
	v_fma_f64 v[20:21], v[10:11], v[22:23], v[73:74]
	v_fma_f64 v[69:70], v[12:13], v[22:23], v[80:81]
	v_fma_f64 v[10:11], v[88:89], v[22:23], -v[96:97]
	v_fma_f64 v[22:23], v[75:76], v[22:23], v[24:25]
	v_add_f64 v[24:25], v[86:87], -v[53:54]
	v_fma_f64 v[12:13], v[61:62], 2.0, -v[30:31]
	v_lshl_add_u32 v89, v77, 3, 0
	ds_read_b64 v[90:91], v45
	ds_read_b64 v[92:93], v43
	;; [unrolled: 1-line block ×7, first 2 shown]
	s_waitcnt lgkmcnt(0)
	; wave barrier
	s_waitcnt lgkmcnt(0)
	v_add_f64 v[16:17], v[65:66], -v[16:17]
	v_fma_f64 v[75:76], v[86:87], 2.0, -v[24:25]
	ds_write2_b64 v89, v[12:13], v[30:31] offset1:4
	v_add_f64 v[12:13], v[63:64], -v[67:68]
	v_fma_f64 v[30:31], v[84:85], 2.0, -v[14:15]
	v_and_or_b32 v77, v5, s0, v55
	v_lshl_add_u32 v96, v77, 3, 0
	s_movk_i32 s0, 0x1f8
	v_add_f64 v[10:11], v[82:83], -v[10:11]
	ds_write2_b64 v96, v[75:76], v[24:25] offset1:4
	v_and_or_b32 v24, v4, s0, v55
	v_lshl_add_u32 v97, v24, 3, 0
	v_fma_f64 v[24:25], v[63:64], 2.0, -v[12:13]
	ds_write2_b64 v97, v[30:31], v[14:15] offset1:4
	v_add_f64 v[14:15], v[78:79], -v[18:19]
	v_fma_f64 v[18:19], v[65:66], 2.0, -v[16:17]
	v_and_or_b32 v30, v6, s0, v55
	v_add_f64 v[26:27], v[94:95], -v[26:27]
	v_lshl_add_u32 v98, v30, 3, 0
	s_movk_i32 s0, 0x3f8
	v_add_f64 v[28:29], v[92:93], -v[28:29]
	ds_write2_b64 v98, v[24:25], v[12:13] offset1:4
	v_and_or_b32 v24, v7, s0, v55
	v_add_f64 v[49:50], v[90:91], -v[49:50]
	v_lshl_add_u32 v99, v24, 3, 0
	v_add_f64 v[51:52], v[53:54], -v[51:52]
	ds_write2_b64 v99, v[18:19], v[16:17] offset1:4
	v_fma_f64 v[16:17], v[82:83], 2.0, -v[10:11]
	v_add_f64 v[83:84], v[61:62], -v[20:21]
	v_add_f64 v[69:70], v[71:72], -v[69:70]
	v_fma_f64 v[12:13], v[78:79], 2.0, -v[14:15]
	v_add_f64 v[22:23], v[73:74], -v[22:23]
	v_fma_f64 v[24:25], v[94:95], 2.0, -v[26:27]
	v_fma_f64 v[85:86], v[92:93], 2.0, -v[28:29]
	;; [unrolled: 1-line block ×4, first 2 shown]
	v_and_or_b32 v18, v9, s1, v55
	v_fma_f64 v[61:62], v[61:62], 2.0, -v[83:84]
	v_lshl_add_u32 v94, v18, 3, 0
	v_fma_f64 v[71:72], v[71:72], 2.0, -v[69:70]
	ds_write2_b64 v94, v[12:13], v[14:15] offset1:4
	v_and_or_b32 v12, v8, s0, v55
	v_fma_f64 v[73:74], v[73:74], 2.0, -v[22:23]
	v_lshl_add_u32 v55, v12, 3, 0
	ds_write2_b64 v55, v[16:17], v[10:11] offset1:4
	s_waitcnt lgkmcnt(0)
	; wave barrier
	s_waitcnt lgkmcnt(0)
	ds_read_b64 v[30:31], v44
	ds_read_b64 v[63:64], v0
	;; [unrolled: 1-line block ×7, first 2 shown]
	ds_read_b64 v[81:82], v44 offset:5824
	ds_read2_b64 v[10:13], v42 offset0:136 offset1:192
	ds_read2_b64 v[14:17], v2 offset0:120 offset1:176
	;; [unrolled: 1-line block ×3, first 2 shown]
	s_waitcnt lgkmcnt(0)
	; wave barrier
	s_waitcnt lgkmcnt(0)
	ds_write2_b64 v89, v[24:25], v[26:27] offset1:4
	ds_write2_b64 v96, v[85:86], v[28:29] offset1:4
	;; [unrolled: 1-line block ×7, first 2 shown]
	v_and_b32_e32 v55, 7, v59
	v_lshlrev_b32_e32 v22, 4, v55
	s_waitcnt lgkmcnt(0)
	; wave barrier
	s_waitcnt lgkmcnt(0)
	global_load_dwordx4 v[22:25], v22, s[8:9] offset:96
	ds_read2_b64 v[26:29], v42 offset0:136 offset1:192
	ds_read2_b64 v[49:52], v2 offset0:120 offset1:176
	v_and_or_b32 v2, v3, s26, v55
	s_movk_i32 s0, 0xf0
	s_movk_i32 s1, 0x2f0
	s_waitcnt vmcnt(0) lgkmcnt(1)
	v_mul_f64 v[53:54], v[26:27], v[24:25]
	v_mul_f64 v[61:62], v[28:29], v[24:25]
	;; [unrolled: 1-line block ×4, first 2 shown]
	s_waitcnt lgkmcnt(0)
	v_mul_f64 v[73:74], v[49:50], v[24:25]
	v_mul_f64 v[83:84], v[51:52], v[24:25]
	;; [unrolled: 1-line block ×4, first 2 shown]
	v_fma_f64 v[53:54], v[10:11], v[22:23], -v[53:54]
	v_fma_f64 v[61:62], v[12:13], v[22:23], -v[61:62]
	ds_read2_b64 v[10:13], v47 offset0:104 offset1:160
	v_fma_f64 v[26:27], v[26:27], v[22:23], v[69:70]
	v_fma_f64 v[28:29], v[28:29], v[22:23], v[71:72]
	v_fma_f64 v[14:15], v[14:15], v[22:23], -v[73:74]
	v_fma_f64 v[69:70], v[16:17], v[22:23], -v[83:84]
	v_mul_f64 v[16:17], v[16:17], v[24:25]
	s_waitcnt lgkmcnt(0)
	v_mul_f64 v[71:72], v[10:11], v[24:25]
	v_mul_f64 v[73:74], v[12:13], v[24:25]
	v_fma_f64 v[49:50], v[49:50], v[22:23], v[85:86]
	ds_read_b64 v[85:86], v44 offset:5824
	v_mul_f64 v[83:84], v[18:19], v[24:25]
	v_add_f64 v[53:54], v[30:31], -v[53:54]
	ds_read_b64 v[89:90], v45
	ds_read_b64 v[91:92], v43
	;; [unrolled: 1-line block ×3, first 2 shown]
	v_fma_f64 v[51:52], v[51:52], v[22:23], v[16:17]
	s_waitcnt lgkmcnt(3)
	v_mul_f64 v[95:96], v[85:86], v[24:25]
	v_fma_f64 v[16:17], v[18:19], v[22:23], -v[71:72]
	v_fma_f64 v[18:19], v[20:21], v[22:23], -v[73:74]
	v_add_f64 v[20:21], v[79:80], -v[61:62]
	v_mul_f64 v[24:25], v[81:82], v[24:25]
	v_fma_f64 v[71:72], v[10:11], v[22:23], v[83:84]
	v_fma_f64 v[73:74], v[12:13], v[22:23], v[87:88]
	v_fma_f64 v[12:13], v[30:31], 2.0, -v[53:54]
	v_fma_f64 v[10:11], v[81:82], v[22:23], -v[95:96]
	ds_read_b64 v[30:31], v0
	ds_read_b64 v[61:62], v48
	;; [unrolled: 1-line block ×4, first 2 shown]
	v_add_f64 v[14:15], v[77:78], -v[14:15]
	v_fma_f64 v[0:1], v[79:80], 2.0, -v[20:21]
	v_lshl_add_u32 v79, v2, 3, 0
	v_and_or_b32 v2, v5, s0, v55
	v_lshl_add_u32 v80, v2, 3, 0
	v_add_f64 v[2:3], v[63:64], -v[69:70]
	s_waitcnt lgkmcnt(0)
	; wave barrier
	s_waitcnt lgkmcnt(0)
	ds_write2_b64 v79, v[12:13], v[53:54] offset1:8
	ds_write2_b64 v80, v[0:1], v[20:21] offset1:8
	v_fma_f64 v[0:1], v[77:78], 2.0, -v[14:15]
	v_add_f64 v[12:13], v[65:66], -v[16:17]
	v_add_f64 v[16:17], v[67:68], -v[18:19]
	v_fma_f64 v[24:25], v[85:86], v[22:23], v[24:25]
	v_add_f64 v[53:54], v[93:94], -v[26:27]
	v_add_f64 v[10:11], v[75:76], -v[10:11]
	s_movk_i32 s0, 0x1f0
	v_add_f64 v[28:29], v[91:92], -v[28:29]
	v_and_or_b32 v4, v4, s0, v55
	v_add_f64 v[49:50], v[89:90], -v[49:50]
	v_lshl_add_u32 v85, v4, 3, 0
	v_fma_f64 v[4:5], v[63:64], 2.0, -v[2:3]
	v_add_f64 v[51:52], v[30:31], -v[51:52]
	ds_write2_b64 v85, v[0:1], v[14:15] offset1:8
	v_fma_f64 v[0:1], v[65:66], 2.0, -v[12:13]
	v_add_f64 v[65:66], v[83:84], -v[71:72]
	v_fma_f64 v[14:15], v[67:68], 2.0, -v[16:17]
	v_add_f64 v[67:68], v[81:82], -v[73:74]
	v_add_f64 v[69:70], v[61:62], -v[24:25]
	v_fma_f64 v[63:64], v[93:94], 2.0, -v[53:54]
	v_fma_f64 v[18:19], v[75:76], 2.0, -v[10:11]
	v_and_or_b32 v6, v6, s0, v55
	v_fma_f64 v[71:72], v[91:92], 2.0, -v[28:29]
	v_lshl_add_u32 v86, v6, 3, 0
	s_movk_i32 s0, 0x3f0
	v_fma_f64 v[73:74], v[89:90], 2.0, -v[49:50]
	ds_write2_b64 v86, v[4:5], v[2:3] offset1:8
	v_and_or_b32 v2, v7, s0, v55
	v_fma_f64 v[30:31], v[30:31], 2.0, -v[51:52]
	v_lshl_add_u32 v87, v2, 3, 0
	v_fma_f64 v[75:76], v[83:84], 2.0, -v[65:66]
	ds_write2_b64 v87, v[0:1], v[12:13] offset1:8
	v_and_or_b32 v0, v9, s1, v55
	v_fma_f64 v[77:78], v[81:82], 2.0, -v[67:68]
	v_lshl_add_u32 v88, v0, 3, 0
	v_and_or_b32 v0, v8, s0, v55
	v_fma_f64 v[61:62], v[61:62], 2.0, -v[69:70]
	v_lshl_add_u32 v55, v0, 3, 0
	ds_write2_b64 v88, v[14:15], v[16:17] offset1:8
	ds_write2_b64 v55, v[18:19], v[10:11] offset1:8
	s_waitcnt lgkmcnt(0)
	; wave barrier
	s_waitcnt lgkmcnt(0)
	ds_read2_b64 v[0:3], v44 offset1:168
	ds_read_b64 v[18:19], v48
	ds_read2_b64 v[12:15], v42 offset0:192 offset1:248
	ds_read2_b64 v[8:11], v47 offset0:48 offset1:104
	ds_read_b64 v[22:23], v46
	ds_read_b64 v[20:21], v45
	;; [unrolled: 1-line block ×3, first 2 shown]
	ds_read2_b64 v[4:7], v47 offset0:160 offset1:216
	ds_read2_b64 v[24:27], v42 offset0:24 offset1:136
	s_waitcnt lgkmcnt(0)
	; wave barrier
	s_waitcnt lgkmcnt(0)
	ds_write2_b64 v79, v[63:64], v[53:54] offset1:8
	ds_write2_b64 v80, v[71:72], v[28:29] offset1:8
	;; [unrolled: 1-line block ×7, first 2 shown]
	v_and_b32_e32 v49, 15, v60
	v_mul_u32_u24_e32 v28, 6, v49
	v_lshlrev_b32_e32 v55, 4, v28
	s_waitcnt lgkmcnt(0)
	; wave barrier
	s_waitcnt lgkmcnt(0)
	global_load_dwordx4 v[28:31], v55, s[8:9] offset:240
	global_load_dwordx4 v[51:54], v55, s[8:9] offset:256
	v_and_b32_e32 v50, 15, v59
	v_mul_u32_u24_e32 v61, 6, v50
	v_lshlrev_b32_e32 v97, 4, v61
	global_load_dwordx4 v[61:64], v97, s[8:9] offset:272
	global_load_dwordx4 v[65:68], v97, s[8:9] offset:288
	;; [unrolled: 1-line block ×9, first 2 shown]
	ds_read2_b64 v[97:100], v42 offset0:24 offset1:136
	ds_read2_b64 v[105:108], v42 offset0:192 offset1:248
	global_load_dwordx4 v[101:104], v55, s[8:9] offset:224
	s_mov_b32 s0, 0x37c3f68c
	s_mov_b32 s1, 0x3fdc38aa
	v_lshrrev_b32_e32 v55, 4, v59
	v_mul_u32_u24_e32 v55, 0x70, v55
	v_or_b32_e32 v50, v55, v50
	s_waitcnt vmcnt(9) lgkmcnt(0)
	v_mul_f64 v[115:116], v[105:106], v[63:64]
	v_mul_f64 v[63:64], v[12:13], v[63:64]
	;; [unrolled: 1-line block ×6, first 2 shown]
	v_fma_f64 v[12:13], v[12:13], v[61:62], -v[115:116]
	v_fma_f64 v[61:62], v[105:106], v[61:62], v[63:64]
	v_fma_f64 v[30:31], v[24:25], v[28:29], -v[109:110]
	v_fma_f64 v[28:29], v[97:98], v[28:29], v[111:112]
	v_fma_f64 v[24:25], v[26:27], v[51:52], -v[113:114]
	ds_read2_b64 v[109:112], v47 offset0:48 offset1:104
	v_fma_f64 v[26:27], v[99:100], v[51:52], v[53:54]
	ds_read2_b64 v[51:54], v47 offset0:160 offset1:216
	ds_read_b64 v[97:98], v45
	ds_read_b64 v[99:100], v46
	;; [unrolled: 1-line block ×4, first 2 shown]
	s_waitcnt vmcnt(8) lgkmcnt(5)
	v_mul_f64 v[63:64], v[109:110], v[67:68]
	v_mul_f64 v[67:68], v[8:9], v[67:68]
	s_waitcnt vmcnt(7) lgkmcnt(4)
	v_mul_f64 v[105:106], v[51:52], v[71:72]
	s_waitcnt vmcnt(6) lgkmcnt(3)
	;; [unrolled: 2-line block ×3, first 2 shown]
	v_mul_f64 v[119:120], v[99:100], v[79:80]
	v_fma_f64 v[63:64], v[8:9], v[65:66], -v[63:64]
	v_fma_f64 v[65:66], v[109:110], v[65:66], v[67:68]
	v_mul_f64 v[8:9], v[22:23], v[79:80]
	v_fma_f64 v[67:68], v[4:5], v[69:70], -v[105:106]
	s_waitcnt vmcnt(4) lgkmcnt(1)
	v_mul_f64 v[79:80], v[113:114], v[83:84]
	v_fma_f64 v[105:106], v[20:21], v[73:74], -v[117:118]
	v_fma_f64 v[22:23], v[22:23], v[77:78], -v[119:120]
	v_mul_f64 v[83:84], v[18:19], v[83:84]
	v_mul_f64 v[4:5], v[4:5], v[71:72]
	;; [unrolled: 1-line block ×3, first 2 shown]
	v_fma_f64 v[77:78], v[99:100], v[77:78], v[8:9]
	s_waitcnt vmcnt(3)
	v_mul_f64 v[8:9], v[107:108], v[87:88]
	v_fma_f64 v[18:19], v[18:19], v[81:82], -v[79:80]
	v_add_f64 v[71:72], v[105:106], v[67:68]
	v_add_f64 v[79:80], v[22:23], v[63:64]
	v_fma_f64 v[75:76], v[113:114], v[81:82], v[83:84]
	v_mul_f64 v[81:82], v[14:15], v[87:88]
	s_waitcnt vmcnt(2)
	v_mul_f64 v[83:84], v[111:112], v[91:92]
	v_fma_f64 v[4:5], v[51:52], v[69:70], v[4:5]
	v_mul_f64 v[87:88], v[10:11], v[91:92]
	v_add_f64 v[51:52], v[18:19], v[12:13]
	v_fma_f64 v[20:21], v[97:98], v[73:74], v[20:21]
	v_add_f64 v[69:70], v[79:80], v[71:72]
	v_add_f64 v[73:74], v[77:78], -v[65:66]
	v_add_f64 v[91:92], v[61:62], -v[75:76]
	v_fma_f64 v[14:15], v[14:15], v[85:86], -v[8:9]
	v_fma_f64 v[81:82], v[107:108], v[85:86], v[81:82]
	v_fma_f64 v[83:84], v[10:11], v[89:90], -v[83:84]
	v_fma_f64 v[85:86], v[111:112], v[89:90], v[87:88]
	v_add_f64 v[89:90], v[20:21], -v[4:5]
	v_add_f64 v[69:70], v[51:52], v[69:70]
	v_add_f64 v[99:100], v[71:72], -v[51:52]
	v_add_f64 v[107:108], v[91:92], -v[73:74]
	v_add_f64 v[97:98], v[91:92], v[73:74]
	v_add_f64 v[51:52], v[51:52], -v[79:80]
	s_waitcnt vmcnt(1)
	v_mul_f64 v[87:88], v[53:54], v[95:96]
	v_mul_f64 v[95:96], v[6:7], v[95:96]
	v_add_f64 v[91:92], v[89:90], -v[91:92]
	v_add_f64 v[0:1], v[0:1], v[69:70]
	v_mul_f64 v[99:100], v[99:100], s[4:5]
	v_mul_f64 v[107:108], v[107:108], s[14:15]
	v_add_f64 v[97:98], v[97:98], v[89:90]
	v_add_f64 v[4:5], v[20:21], v[4:5]
	v_fma_f64 v[6:7], v[6:7], v[93:94], -v[87:88]
	v_fma_f64 v[53:54], v[53:54], v[93:94], v[95:96]
	v_add_f64 v[20:21], v[77:78], v[65:66]
	v_fma_f64 v[69:70], v[69:70], s[10:11], v[0:1]
	v_fma_f64 v[109:110], v[51:52], s[16:17], v[99:100]
	;; [unrolled: 1-line block ×3, first 2 shown]
	v_add_f64 v[22:23], v[22:23], -v[63:64]
	v_add_f64 v[12:13], v[12:13], -v[18:19]
	v_add_f64 v[18:19], v[75:76], v[61:62]
	v_lshl_add_u32 v95, v50, 3, 0
	v_add_f64 v[61:62], v[20:21], v[4:5]
	ds_read2_b64 v[8:11], v44 offset1:168
	v_add_f64 v[87:88], v[109:110], v[69:70]
	v_fma_f64 v[93:94], v[97:98], s[0:1], v[111:112]
	s_waitcnt lgkmcnt(0)
	; wave barrier
	s_waitcnt lgkmcnt(0)
	v_add_f64 v[63:64], v[79:80], -v[71:72]
	v_mul_f64 v[50:51], v[51:52], s[16:17]
	v_add_f64 v[61:62], v[18:19], v[61:62]
	s_waitcnt vmcnt(0)
	v_mul_f64 v[113:114], v[10:11], v[103:104]
	v_mul_f64 v[103:104], v[2:3], v[103:104]
	v_add_f64 v[65:66], v[93:94], v[87:88]
	v_fma_f64 v[50:51], v[63:64], s[18:19], -v[50:51]
	v_add_f64 v[71:72], v[8:9], v[61:62]
	v_fma_f64 v[63:64], v[63:64], s[22:23], -v[99:100]
	v_fma_f64 v[2:3], v[2:3], v[101:102], -v[113:114]
	ds_write2_b64 v95, v[0:1], v[65:66] offset1:16
	v_add_f64 v[0:1], v[105:106], -v[67:68]
	v_add_f64 v[65:66], v[20:21], -v[4:5]
	v_add_f64 v[67:68], v[12:13], v[22:23]
	v_add_f64 v[4:5], v[4:5], -v[18:19]
	v_add_f64 v[18:19], v[18:19], -v[20:21]
	;; [unrolled: 1-line block ×3, first 2 shown]
	v_fma_f64 v[61:62], v[61:62], s[10:11], v[71:72]
	v_add_f64 v[50:51], v[50:51], v[69:70]
	v_add_f64 v[12:13], v[0:1], -v[12:13]
	v_add_f64 v[22:23], v[22:23], -v[0:1]
	v_add_f64 v[0:1], v[67:68], v[0:1]
	v_add_f64 v[67:68], v[73:74], -v[89:90]
	v_mul_f64 v[4:5], v[4:5], s[4:5]
	v_mul_f64 v[8:9], v[18:19], s[16:17]
	;; [unrolled: 1-line block ×3, first 2 shown]
	v_add_f64 v[63:64], v[63:64], v[69:70]
	v_fma_f64 v[10:11], v[10:11], v[101:102], v[103:104]
	v_mul_f64 v[73:74], v[22:23], s[20:21]
	v_fma_f64 v[18:19], v[18:19], s[16:17], v[4:5]
	v_fma_f64 v[8:9], v[65:66], s[18:19], -v[8:9]
	v_fma_f64 v[4:5], v[65:66], s[22:23], -v[4:5]
	v_mul_f64 v[65:66], v[67:68], s[20:21]
	v_fma_f64 v[22:23], v[22:23], s[20:21], -v[20:21]
	v_fma_f64 v[20:21], v[12:13], s[6:7], v[20:21]
	v_fma_f64 v[67:68], v[67:68], s[20:21], -v[107:108]
	v_fma_f64 v[12:13], v[12:13], s[24:25], -v[73:74]
	v_add_f64 v[18:19], v[18:19], v[61:62]
	v_add_f64 v[8:9], v[8:9], v[61:62]
	;; [unrolled: 1-line block ×3, first 2 shown]
	v_fma_f64 v[65:66], v[91:92], s[24:25], -v[65:66]
	v_fma_f64 v[22:23], v[0:1], s[0:1], v[22:23]
	v_fma_f64 v[67:68], v[97:98], s[0:1], v[67:68]
	;; [unrolled: 1-line block ×5, first 2 shown]
	v_add_f64 v[61:62], v[22:23], v[8:9]
	v_add_f64 v[20:21], v[50:51], -v[67:68]
	v_add_f64 v[50:51], v[67:68], v[50:51]
	v_add_f64 v[67:68], v[8:9], -v[22:23]
	v_add_f64 v[69:70], v[18:19], -v[0:1]
	v_add_f64 v[73:74], v[0:1], v[18:19]
	v_add_f64 v[8:9], v[65:66], v[63:64]
	v_add_f64 v[22:23], v[63:64], -v[65:66]
	v_add_f64 v[63:64], v[4:5], -v[12:13]
	v_add_f64 v[65:66], v[12:13], v[4:5]
	v_add_f64 v[0:1], v[2:3], v[6:7]
	;; [unrolled: 1-line block ×3, first 2 shown]
	v_add_f64 v[2:3], v[2:3], -v[6:7]
	v_add_f64 v[6:7], v[10:11], v[53:54]
	v_add_f64 v[10:11], v[10:11], -v[53:54]
	v_add_f64 v[18:19], v[30:31], -v[83:84]
	v_add_f64 v[30:31], v[28:29], v[85:86]
	v_add_f64 v[52:53], v[24:25], v[14:15]
	v_add_f64 v[14:15], v[14:15], -v[24:25]
	v_add_f64 v[54:55], v[12:13], v[0:1]
	v_add_f64 v[24:25], v[26:27], v[81:82]
	v_add_f64 v[28:29], v[28:29], -v[85:86]
	v_add_f64 v[26:27], v[81:82], -v[26:27]
	;; [unrolled: 1-line block ×3, first 2 shown]
	v_add_f64 v[77:78], v[30:31], v[6:7]
	v_add_f64 v[0:1], v[0:1], -v[52:53]
	v_add_f64 v[12:13], v[52:53], -v[12:13]
	v_add_f64 v[52:53], v[52:53], v[54:55]
	v_add_f64 v[54:55], v[14:15], v[18:19]
	v_add_f64 v[79:80], v[30:31], -v[6:7]
	v_add_f64 v[6:7], v[6:7], -v[24:25]
	;; [unrolled: 1-line block ×3, first 2 shown]
	v_add_f64 v[24:25], v[24:25], v[77:78]
	v_add_f64 v[77:78], v[14:15], -v[18:19]
	v_add_f64 v[14:15], v[2:3], -v[14:15]
	;; [unrolled: 1-line block ×3, first 2 shown]
	v_add_f64 v[2:3], v[54:55], v[2:3]
	v_add_f64 v[54:55], v[26:27], v[28:29]
	v_mul_f64 v[0:1], v[0:1], s[4:5]
	v_mul_f64 v[81:82], v[12:13], s[16:17]
	v_add_f64 v[83:84], v[26:27], -v[28:29]
	v_mul_f64 v[6:7], v[6:7], s[4:5]
	v_add_f64 v[28:29], v[28:29], -v[10:11]
	;; [unrolled: 2-line block ×3, first 2 shown]
	v_add_f64 v[10:11], v[54:55], v[10:11]
	v_fma_f64 v[12:13], v[12:13], s[16:17], v[0:1]
	v_fma_f64 v[54:55], v[75:76], s[18:19], -v[81:82]
	v_fma_f64 v[0:1], v[75:76], s[22:23], -v[0:1]
	v_fma_f64 v[30:31], v[30:31], s[16:17], v[6:7]
	v_add_f64 v[16:17], v[16:17], v[52:53]
	v_mul_f64 v[75:76], v[77:78], s[14:15]
	v_fma_f64 v[77:78], v[79:80], s[18:19], -v[85:86]
	v_add_f64 v[81:82], v[115:116], v[24:25]
	v_mul_f64 v[83:84], v[83:84], s[14:15]
	v_mul_f64 v[85:86], v[18:19], s[20:21]
	v_fma_f64 v[6:7], v[79:80], s[22:23], -v[6:7]
	v_mul_f64 v[79:80], v[28:29], s[20:21]
	v_fma_f64 v[52:53], v[52:53], s[10:11], v[16:17]
	v_fma_f64 v[18:19], v[18:19], s[20:21], -v[75:76]
	v_fma_f64 v[75:76], v[14:15], s[6:7], v[75:76]
	v_fma_f64 v[24:25], v[24:25], s[10:11], v[81:82]
	v_fma_f64 v[28:29], v[28:29], s[20:21], -v[83:84]
	v_fma_f64 v[14:15], v[14:15], s[24:25], -v[85:86]
	v_fma_f64 v[83:84], v[26:27], s[6:7], v[83:84]
	v_fma_f64 v[26:27], v[26:27], s[24:25], -v[79:80]
	v_add_f64 v[12:13], v[12:13], v[52:53]
	v_add_f64 v[54:55], v[54:55], v[52:53]
	;; [unrolled: 1-line block ×4, first 2 shown]
	v_fma_f64 v[28:29], v[10:11], s[0:1], v[28:29]
	v_add_f64 v[52:53], v[77:78], v[24:25]
	v_fma_f64 v[18:19], v[2:3], s[0:1], v[18:19]
	v_add_f64 v[6:7], v[6:7], v[24:25]
	v_fma_f64 v[24:25], v[10:11], s[0:1], v[26:27]
	v_fma_f64 v[26:27], v[2:3], s[0:1], v[75:76]
	;; [unrolled: 1-line block ×4, first 2 shown]
	v_add_f64 v[4:5], v[87:88], -v[93:94]
	v_add_f64 v[14:15], v[54:55], -v[28:29]
	v_add_f64 v[28:29], v[28:29], v[54:55]
	v_add_f64 v[54:55], v[18:19], v[52:53]
	v_add_f64 v[52:53], v[52:53], -v[18:19]
	v_add_f64 v[18:19], v[24:25], v[0:1]
	v_add_f64 v[75:76], v[6:7], -v[2:3]
	v_add_f64 v[77:78], v[2:3], v[6:7]
	v_add_f64 v[2:3], v[10:11], v[12:13]
	ds_write2_b64 v95, v[8:9], v[20:21] offset0:32 offset1:48
	v_lshrrev_b32_e32 v8, 4, v60
	v_add_f64 v[0:1], v[0:1], -v[24:25]
	v_mul_lo_u32 v8, v8, s26
	v_add_f64 v[6:7], v[12:13], -v[10:11]
	ds_write2_b64 v95, v[50:51], v[22:23] offset0:64 offset1:80
	ds_write_b64 v95, v[4:5] offset:768
	v_add_f64 v[79:80], v[30:31], -v[26:27]
	v_or_b32_e32 v4, v8, v49
	v_lshl_add_u32 v49, v4, 3, 0
	v_add_f64 v[30:31], v[26:27], v[30:31]
	ds_write2_b64 v49, v[16:17], v[2:3] offset1:16
	ds_write2_b64 v49, v[18:19], v[14:15] offset0:32 offset1:48
	ds_write2_b64 v49, v[28:29], v[0:1] offset0:64 offset1:80
	ds_write_b64 v49, v[6:7] offset:768
	s_waitcnt lgkmcnt(0)
	; wave barrier
	s_waitcnt lgkmcnt(0)
	ds_read2_b64 v[0:3], v44 offset1:168
	ds_read_b64 v[20:21], v48
	ds_read2_b64 v[4:7], v42 offset0:192 offset1:248
	ds_read2_b64 v[12:15], v47 offset0:48 offset1:104
	;; [unrolled: 1-line block ×3, first 2 shown]
	ds_read_b64 v[24:25], v46
	ds_read_b64 v[22:23], v45
	;; [unrolled: 1-line block ×3, first 2 shown]
	ds_read2_b64 v[16:19], v42 offset0:24 offset1:136
	s_waitcnt lgkmcnt(0)
	; wave barrier
	s_waitcnt lgkmcnt(0)
	ds_write2_b64 v95, v[71:72], v[69:70] offset1:16
	ds_write2_b64 v95, v[63:64], v[61:62] offset0:32 offset1:48
	ds_write2_b64 v95, v[67:68], v[65:66] offset0:64 offset1:80
	ds_write_b64 v95, v[73:74] offset:768
	ds_write2_b64 v49, v[81:82], v[79:80] offset1:16
	ds_write2_b64 v49, v[75:76], v[54:55] offset0:32 offset1:48
	ds_write2_b64 v49, v[52:53], v[77:78] offset0:64 offset1:80
	ds_write_b64 v49, v[30:31] offset:768
	s_waitcnt lgkmcnt(0)
	; wave barrier
	s_waitcnt lgkmcnt(0)
	s_and_saveexec_b64 s[26:27], vcc
	s_cbranch_execz .LBB0_15
; %bb.14:
	v_mul_i32_i24_e32 v28, 6, v60
	v_mov_b32_e32 v29, 0
	v_lshlrev_b64 v[28:29], 4, v[28:29]
	v_mov_b32_e32 v30, s9
	v_add_co_u32_e32 v54, vcc, s8, v28
	v_mul_u32_u24_e32 v28, 6, v59
	v_lshlrev_b32_e32 v92, 4, v28
	v_addc_co_u32_e32 v55, vcc, v30, v29, vcc
	global_load_dwordx4 v[28:31], v92, s[8:9] offset:1760
	global_load_dwordx4 v[42:45], v92, s[8:9] offset:1840
	global_load_dwordx4 v[46:49], v[54:55], off offset:1840
	global_load_dwordx4 v[50:53], v92, s[8:9] offset:1808
	global_load_dwordx4 v[60:63], v92, s[8:9] offset:1792
	;; [unrolled: 1-line block ×3, first 2 shown]
	global_load_dwordx4 v[68:71], v[54:55], off offset:1760
	global_load_dwordx4 v[72:75], v[54:55], off offset:1824
	global_load_dwordx4 v[76:79], v92, s[8:9] offset:1776
	global_load_dwordx4 v[80:83], v[54:55], off offset:1808
	global_load_dwordx4 v[84:87], v[54:55], off offset:1792
	;; [unrolled: 1-line block ×3, first 2 shown]
	v_sub_u32_e32 v37, 0, v37
	v_sub_u32_e32 v38, 0, v38
	;; [unrolled: 1-line block ×5, first 2 shown]
	v_add_u32_e32 v37, v32, v37
	v_add_u32_e32 v38, v34, v38
	;; [unrolled: 1-line block ×7, first 2 shown]
	ds_read2_b64 v[32:35], v37 offset1:168
	ds_read_b64 v[40:41], v38
	ds_read_b64 v[54:55], v39
	ds_read_b64 v[104:105], v36
	ds_read_b64 v[106:107], v92
	ds_read2_b64 v[36:39], v100 offset0:160 offset1:216
	ds_read2_b64 v[92:95], v96 offset0:192 offset1:248
	;; [unrolled: 1-line block ×4, first 2 shown]
	s_waitcnt vmcnt(11) lgkmcnt(6)
	v_mul_f64 v[108:109], v[30:31], v[54:55]
	s_waitcnt vmcnt(10) lgkmcnt(3)
	v_mul_f64 v[110:111], v[44:45], v[36:37]
	s_waitcnt vmcnt(9)
	v_mul_f64 v[112:113], v[48:49], v[38:39]
	v_mul_f64 v[38:39], v[46:47], v[38:39]
	;; [unrolled: 1-line block ×3, first 2 shown]
	s_waitcnt vmcnt(8) lgkmcnt(2)
	v_mul_f64 v[114:115], v[52:53], v[92:93]
	s_waitcnt vmcnt(5)
	v_mul_f64 v[36:37], v[70:71], v[34:35]
	v_mul_f64 v[34:35], v[68:69], v[34:35]
	;; [unrolled: 1-line block ×3, first 2 shown]
	s_waitcnt lgkmcnt(0)
	v_mul_f64 v[118:119], v[66:67], v[100:101]
	v_fma_f64 v[46:47], v[10:11], v[46:47], -v[112:113]
	v_fma_f64 v[10:11], v[10:11], v[48:49], v[38:39]
	s_waitcnt vmcnt(4)
	v_mul_f64 v[38:39], v[74:75], v[102:103]
	v_mul_f64 v[48:49], v[72:73], v[102:103]
	v_fma_f64 v[36:37], v[2:3], v[68:69], -v[36:37]
	v_fma_f64 v[2:3], v[2:3], v[70:71], v[34:35]
	s_waitcnt vmcnt(2)
	v_mul_f64 v[34:35], v[82:83], v[94:95]
	s_waitcnt vmcnt(1)
	v_mul_f64 v[68:69], v[86:87], v[98:99]
	;; [unrolled: 2-line block ×3, first 2 shown]
	v_mul_f64 v[100:101], v[64:65], v[100:101]
	v_fma_f64 v[38:39], v[14:15], v[72:73], -v[38:39]
	v_fma_f64 v[14:15], v[14:15], v[74:75], v[48:49]
	v_mul_f64 v[48:49], v[90:91], v[96:97]
	v_mul_f64 v[72:73], v[84:85], v[98:99]
	;; [unrolled: 1-line block ×3, first 2 shown]
	v_fma_f64 v[34:35], v[6:7], v[80:81], -v[34:35]
	v_fma_f64 v[68:69], v[18:19], v[84:85], -v[68:69]
	v_add_f64 v[84:85], v[2:3], v[10:11]
	v_add_f64 v[2:3], v[2:3], -v[10:11]
	v_mul_f64 v[102:103], v[78:79], v[106:107]
	v_fma_f64 v[48:49], v[16:17], v[88:89], -v[48:49]
	v_fma_f64 v[16:17], v[16:17], v[90:91], v[70:71]
	v_fma_f64 v[18:19], v[18:19], v[86:87], v[72:73]
	;; [unrolled: 1-line block ×3, first 2 shown]
	v_add_f64 v[74:75], v[36:37], -v[46:47]
	v_add_f64 v[80:81], v[34:35], -v[68:69]
	v_add_f64 v[36:37], v[36:37], v[46:47]
	v_add_f64 v[34:35], v[34:35], v[68:69]
	v_add_f64 v[82:83], v[48:49], -v[38:39]
	v_add_f64 v[86:87], v[16:17], v[14:15]
	v_add_f64 v[38:39], v[48:49], v[38:39]
	;; [unrolled: 1-line block ×3, first 2 shown]
	v_add_f64 v[6:7], v[6:7], -v[18:19]
	v_add_f64 v[10:11], v[16:17], -v[14:15]
	v_add_f64 v[18:19], v[74:75], -v[80:81]
	v_add_f64 v[90:91], v[36:37], -v[34:35]
	v_add_f64 v[14:15], v[80:81], -v[82:83]
	v_add_f64 v[16:17], v[80:81], v[82:83]
	v_add_f64 v[46:47], v[84:85], v[86:87]
	v_add_f64 v[48:49], v[84:85], -v[88:89]
	v_add_f64 v[68:69], v[88:89], -v[86:87]
	v_add_f64 v[80:81], v[36:37], v[38:39]
	v_add_f64 v[96:97], v[34:35], -v[38:39]
	v_add_f64 v[84:85], v[86:87], -v[84:85]
	;; [unrolled: 1-line block ×5, first 2 shown]
	v_add_f64 v[6:7], v[6:7], v[10:11]
	v_add_f64 v[82:83], v[82:83], -v[74:75]
	v_add_f64 v[10:11], v[10:11], -v[2:3]
	v_mul_f64 v[98:99], v[14:15], s[14:15]
	v_add_f64 v[46:47], v[88:89], v[46:47]
	v_add_f64 v[34:35], v[34:35], v[80:81]
	v_mul_f64 v[54:55], v[28:29], v[54:55]
	v_mul_f64 v[38:39], v[38:39], s[14:15]
	v_add_f64 v[2:3], v[2:3], v[6:7]
	v_mul_f64 v[80:81], v[82:83], s[20:21]
	v_mul_f64 v[6:7], v[10:11], s[20:21]
	;; [unrolled: 1-line block ×3, first 2 shown]
	v_add_f64 v[74:75], v[74:75], v[16:17]
	v_mul_f64 v[88:89], v[48:49], s[4:5]
	v_mul_f64 v[68:69], v[68:69], s[16:17]
	v_add_f64 v[16:17], v[40:41], v[46:47]
	v_fma_f64 v[10:11], v[10:11], s[20:21], -v[38:39]
	v_fma_f64 v[40:41], v[18:19], s[24:25], -v[80:81]
	v_fma_f64 v[18:19], v[18:19], s[6:7], v[98:99]
	v_fma_f64 v[6:7], v[86:87], s[24:25], -v[6:7]
	v_fma_f64 v[86:87], v[86:87], s[6:7], v[38:39]
	v_fma_f64 v[70:71], v[4:5], v[50:51], -v[114:115]
	v_fma_f64 v[72:73], v[20:21], v[60:61], -v[116:117]
	v_add_f64 v[14:15], v[26:27], v[34:35]
	v_mul_f64 v[26:27], v[90:91], s[4:5]
	v_fma_f64 v[48:49], v[48:49], s[4:5], v[68:69]
	v_fma_f64 v[88:89], v[84:85], s[22:23], -v[88:89]
	v_fma_f64 v[68:69], v[84:85], s[18:19], -v[68:69]
	v_fma_f64 v[38:39], v[74:75], s[0:1], v[18:19]
	v_fma_f64 v[84:85], v[2:3], s[0:1], v[86:87]
	;; [unrolled: 1-line block ×5, first 2 shown]
	v_fma_f64 v[76:77], v[24:25], v[76:77], -v[102:103]
	v_fma_f64 v[64:65], v[12:13], v[64:65], -v[118:119]
	v_fma_f64 v[44:45], v[8:9], v[44:45], v[120:121]
	v_fma_f64 v[30:31], v[22:23], v[30:31], v[54:55]
	;; [unrolled: 1-line block ×4, first 2 shown]
	v_mul_f64 v[2:3], v[60:61], v[104:105]
	v_mul_f64 v[6:7], v[50:51], v[92:93]
	v_fma_f64 v[26:27], v[36:37], s[22:23], -v[26:27]
	v_fma_f64 v[82:83], v[82:83], s[20:21], -v[98:99]
	v_fma_f64 v[46:47], v[46:47], s[10:11], v[16:17]
	v_fma_f64 v[34:35], v[34:35], s[10:11], v[14:15]
	v_fma_f64 v[12:13], v[22:23], v[28:29], -v[108:109]
	v_fma_f64 v[22:23], v[8:9], v[42:43], -v[110:111]
	v_add_f64 v[28:29], v[70:71], -v[72:73]
	v_add_f64 v[42:43], v[76:77], -v[64:65]
	v_add_f64 v[50:51], v[30:31], v[44:45]
	v_add_f64 v[60:61], v[24:25], v[54:55]
	v_fma_f64 v[62:63], v[20:21], v[62:63], v[2:3]
	v_fma_f64 v[52:53], v[4:5], v[52:53], v[6:7]
	v_add_f64 v[48:49], v[48:49], v[46:47]
	v_fma_f64 v[74:75], v[74:75], s[0:1], v[82:83]
	v_add_f64 v[82:83], v[88:89], v[46:47]
	v_add_f64 v[26:27], v[26:27], v[34:35]
	;; [unrolled: 1-line block ×3, first 2 shown]
	v_add_f64 v[20:21], v[28:29], -v[42:43]
	v_add_f64 v[78:79], v[50:51], v[60:61]
	v_add_f64 v[86:87], v[52:53], v[62:63]
	;; [unrolled: 1-line block ×5, first 2 shown]
	v_add_f64 v[2:3], v[26:27], -v[40:41]
	v_add_f64 v[8:9], v[46:47], -v[74:75]
	;; [unrolled: 1-line block ×3, first 2 shown]
	v_add_f64 v[12:13], v[74:75], v[46:47]
	v_mul_f64 v[74:75], v[20:21], s[14:15]
	v_add_f64 v[20:21], v[82:83], -v[18:19]
	v_add_f64 v[22:23], v[86:87], v[78:79]
	v_add_f64 v[18:19], v[40:41], v[26:27]
	;; [unrolled: 1-line block ×4, first 2 shown]
	v_mul_f64 v[96:97], v[96:97], s[16:17]
	v_add_f64 v[52:53], v[52:53], -v[62:63]
	v_add_f64 v[54:55], v[24:25], -v[54:55]
	v_add_f64 v[62:63], v[86:87], -v[60:61]
	v_add_f64 v[24:25], v[32:33], v[22:23]
	v_add_f64 v[30:31], v[30:31], -v[44:45]
	v_add_f64 v[46:47], v[66:67], -v[28:29]
	v_add_f64 v[26:27], v[40:41], v[26:27]
	v_add_f64 v[70:71], v[40:41], -v[64:65]
	v_fma_f64 v[36:37], v[36:37], s[18:19], -v[96:97]
	v_add_f64 v[28:29], v[28:29], v[42:43]
	v_add_f64 v[32:33], v[50:51], -v[86:87]
	v_add_f64 v[44:45], v[52:53], -v[54:55]
	v_fma_f64 v[72:73], v[22:23], s[10:11], v[24:25]
	v_mul_f64 v[62:63], v[62:63], s[16:17]
	v_add_f64 v[22:23], v[0:1], v[26:27]
	v_add_f64 v[0:1], v[88:89], -v[40:41]
	v_mul_f64 v[40:41], v[70:71], s[16:17]
	v_add_f64 v[70:71], v[30:31], -v[52:53]
	v_add_f64 v[52:53], v[52:53], v[54:55]
	v_add_f64 v[42:43], v[42:43], -v[66:67]
	v_add_f64 v[54:55], v[54:55], -v[30:31]
	v_add_f64 v[68:69], v[36:37], v[34:35]
	v_mul_f64 v[76:77], v[32:33], s[4:5]
	v_fma_f64 v[32:33], v[32:33], s[4:5], v[62:63]
	v_add_f64 v[50:51], v[60:61], -v[50:51]
	v_add_f64 v[28:29], v[66:67], v[28:29]
	v_add_f64 v[30:31], v[30:31], v[52:53]
	v_mul_f64 v[52:53], v[42:43], s[20:21]
	v_mul_f64 v[44:45], v[44:45], s[14:15]
	;; [unrolled: 1-line block ×3, first 2 shown]
	v_add_f64 v[60:61], v[64:65], -v[88:89]
	v_mul_f64 v[64:65], v[54:55], s[20:21]
	v_add_f64 v[6:7], v[10:11], v[68:69]
	v_add_f64 v[10:11], v[68:69], -v[10:11]
	v_fma_f64 v[68:69], v[46:47], s[6:7], v[74:75]
	v_add_f64 v[82:83], v[32:33], v[72:73]
	v_fma_f64 v[32:33], v[46:47], s[24:25], -v[52:53]
	v_fma_f64 v[46:47], v[50:51], s[22:23], -v[76:77]
	;; [unrolled: 1-line block ×4, first 2 shown]
	v_fma_f64 v[26:27], v[26:27], s[10:11], v[22:23]
	v_fma_f64 v[0:1], v[0:1], s[4:5], v[40:41]
	v_fma_f64 v[78:79], v[70:71], s[6:7], v[44:45]
	v_fma_f64 v[52:53], v[60:61], s[22:23], -v[66:67]
	v_fma_f64 v[40:41], v[60:61], s[18:19], -v[40:41]
	;; [unrolled: 1-line block ×4, first 2 shown]
	v_add_f64 v[60:61], v[46:47], v[72:73]
	v_add_f64 v[46:47], v[50:51], v[72:73]
	v_fma_f64 v[50:51], v[28:29], s[0:1], v[42:43]
	v_fma_f64 v[54:55], v[28:29], s[0:1], v[32:33]
	v_add_f64 v[62:63], v[52:53], v[26:27]
	v_add_f64 v[52:53], v[40:41], v[26:27]
	v_fma_f64 v[66:67], v[30:31], s[0:1], v[44:45]
	v_fma_f64 v[68:69], v[28:29], s[0:1], v[68:69]
	;; [unrolled: 1-line block ×4, first 2 shown]
	v_mad_u64_u32 v[70:71], s[0:1], s2, v59, 0
	v_add_f64 v[0:1], v[0:1], v[26:27]
	v_add_f64 v[36:37], v[38:39], v[48:49]
	v_add_f64 v[28:29], v[48:49], -v[38:39]
	v_add_f64 v[44:45], v[46:47], -v[50:51]
	v_add_f64 v[48:49], v[50:51], v[46:47]
	v_mov_b32_e32 v50, v71
	v_add_f64 v[40:41], v[54:55], v[60:61]
	v_add_f64 v[42:43], v[66:67], v[52:53]
	v_add_f64 v[46:47], v[52:53], -v[66:67]
	v_add_f64 v[52:53], v[60:61], -v[54:55]
	v_mad_u64_u32 v[54:55], s[0:1], s3, v59, v[50:51]
	v_add_f64 v[38:39], v[62:63], -v[64:65]
	v_add_f64 v[50:51], v[64:65], v[62:63]
	v_mov_b32_e32 v71, v54
	v_mov_b32_e32 v54, s13
	v_add_co_u32_e32 v65, vcc, s12, v56
	v_add_u32_e32 v64, 0x70, v59
	v_addc_co_u32_e32 v66, vcc, v54, v57, vcc
	v_lshlrev_b64 v[54:55], 4, v[70:71]
	v_add_f64 v[30:31], v[0:1], -v[78:79]
	v_add_f64 v[60:61], v[78:79], v[0:1]
	v_mad_u64_u32 v[0:1], s[0:1], s2, v64, 0
	v_add_co_u32_e32 v54, vcc, v65, v54
	v_addc_co_u32_e32 v55, vcc, v66, v55, vcc
	global_store_dwordx4 v[54:55], v[22:25], off
	v_mad_u64_u32 v[56:57], s[0:1], s3, v64, v[1:2]
	v_add_u32_e32 v24, 0xe0, v59
	v_mad_u64_u32 v[22:23], s[0:1], s2, v24, 0
	v_add_f64 v[62:63], v[82:83], -v[68:69]
	v_mov_b32_e32 v1, v56
	v_mad_u64_u32 v[23:24], s[0:1], s3, v24, v[23:24]
	v_add_u32_e32 v54, 0x150, v59
	v_lshlrev_b64 v[0:1], 4, v[0:1]
	v_mad_u64_u32 v[24:25], s[0:1], s2, v54, 0
	v_add_co_u32_e32 v0, vcc, v65, v0
	v_addc_co_u32_e32 v1, vcc, v66, v1, vcc
	global_store_dwordx4 v[0:1], v[60:63], off
	v_lshlrev_b64 v[0:1], 4, v[22:23]
	v_mov_b32_e32 v22, v25
	v_mad_u64_u32 v[22:23], s[0:1], s3, v54, v[22:23]
	v_add_co_u32_e32 v0, vcc, v65, v0
	v_addc_co_u32_e32 v1, vcc, v66, v1, vcc
	v_mov_b32_e32 v25, v22
	global_store_dwordx4 v[0:1], v[50:53], off
	v_lshlrev_b64 v[0:1], 4, v[24:25]
	v_or_b32_e32 v24, 0x1c0, v59
	v_mad_u64_u32 v[22:23], s[0:1], s2, v24, 0
	v_add_u32_e32 v50, 0x230, v59
	v_add_co_u32_e32 v0, vcc, v65, v0
	v_mad_u64_u32 v[23:24], s[0:1], s3, v24, v[23:24]
	v_mad_u64_u32 v[24:25], s[0:1], s2, v50, 0
	v_addc_co_u32_e32 v1, vcc, v66, v1, vcc
	global_store_dwordx4 v[0:1], v[46:49], off
	v_lshlrev_b64 v[0:1], 4, v[22:23]
	v_mov_b32_e32 v22, v25
	v_mad_u64_u32 v[22:23], s[0:1], s3, v50, v[22:23]
	v_add_co_u32_e32 v0, vcc, v65, v0
	v_addc_co_u32_e32 v1, vcc, v66, v1, vcc
	v_mov_b32_e32 v25, v22
	global_store_dwordx4 v[0:1], v[42:45], off
	v_lshlrev_b64 v[0:1], 4, v[24:25]
	v_add_u32_e32 v24, 0x2a0, v59
	v_mad_u64_u32 v[22:23], s[0:1], s2, v24, 0
	v_lshrrev_b32_e32 v25, 4, v58
	s_mov_b32 s0, 0x24924925
	v_mul_hi_u32 v25, v25, s0
	v_fma_f64 v[80:81], v[90:91], s[4:5], v[96:97]
	s_movk_i32 s4, 0x2a0
	v_mad_u64_u32 v[23:24], s[0:1], s3, v24, v[23:24]
	v_mad_u32_u24 v42, v25, s4, v58
	v_mad_u64_u32 v[24:25], s[0:1], s2, v42, 0
	v_add_f64 v[32:33], v[68:69], v[82:83]
	v_add_co_u32_e32 v0, vcc, v65, v0
	v_addc_co_u32_e32 v1, vcc, v66, v1, vcc
	global_store_dwordx4 v[0:1], v[38:41], off
	v_lshlrev_b64 v[0:1], 4, v[22:23]
	v_mov_b32_e32 v22, v25
	v_mad_u64_u32 v[22:23], s[0:1], s3, v42, v[22:23]
	v_add_co_u32_e32 v0, vcc, v65, v0
	v_addc_co_u32_e32 v1, vcc, v66, v1, vcc
	v_mov_b32_e32 v25, v22
	global_store_dwordx4 v[0:1], v[30:33], off
	v_lshlrev_b64 v[0:1], 4, v[24:25]
	v_add_u32_e32 v24, 0x70, v42
	v_mad_u64_u32 v[22:23], s[0:1], s2, v24, 0
	v_add_f64 v[80:81], v[80:81], v[34:35]
	v_add_u32_e32 v30, 0xe0, v42
	v_mad_u64_u32 v[23:24], s[0:1], s3, v24, v[23:24]
	v_mad_u64_u32 v[24:25], s[0:1], s2, v30, 0
	v_add_co_u32_e32 v0, vcc, v65, v0
	v_addc_co_u32_e32 v1, vcc, v66, v1, vcc
	global_store_dwordx4 v[0:1], v[14:17], off
	v_add_f64 v[26:27], v[84:85], v[80:81]
	v_mov_b32_e32 v14, v25
	v_mad_u64_u32 v[14:15], s[0:1], s3, v30, v[14:15]
	v_add_u32_e32 v16, 0x150, v42
	v_lshlrev_b64 v[0:1], 4, v[22:23]
	v_mov_b32_e32 v25, v14
	v_mad_u64_u32 v[14:15], s[0:1], s2, v16, 0
	v_add_co_u32_e32 v0, vcc, v65, v0
	v_addc_co_u32_e32 v1, vcc, v66, v1, vcc
	global_store_dwordx4 v[0:1], v[26:29], off
	v_lshlrev_b64 v[0:1], 4, v[24:25]
	v_mad_u64_u32 v[15:16], s[0:1], s3, v16, v[15:16]
	v_add_co_u32_e32 v0, vcc, v65, v0
	v_addc_co_u32_e32 v1, vcc, v66, v1, vcc
	v_add_u32_e32 v22, 0x1c0, v42
	v_mad_u64_u32 v[16:17], s[0:1], s2, v22, 0
	global_store_dwordx4 v[0:1], v[18:21], off
	v_lshlrev_b64 v[0:1], 4, v[14:15]
	v_mov_b32_e32 v14, v17
	v_add_co_u32_e32 v0, vcc, v65, v0
	v_addc_co_u32_e32 v1, vcc, v66, v1, vcc
	global_store_dwordx4 v[0:1], v[10:13], off
	v_mad_u64_u32 v[14:15], s[0:1], s3, v22, v[14:15]
	v_add_u32_e32 v12, 0x230, v42
	v_mad_u64_u32 v[10:11], s[0:1], s2, v12, 0
	v_mov_b32_e32 v17, v14
	v_add_u32_e32 v14, 0x2a0, v42
	v_mad_u64_u32 v[11:12], s[0:1], s3, v12, v[11:12]
	v_lshlrev_b64 v[0:1], 4, v[16:17]
	v_mad_u64_u32 v[12:13], s[0:1], s2, v14, 0
	v_add_co_u32_e32 v0, vcc, v65, v0
	v_addc_co_u32_e32 v1, vcc, v66, v1, vcc
	global_store_dwordx4 v[0:1], v[6:9], off
	v_add_f64 v[34:35], v[80:81], -v[84:85]
	v_mov_b32_e32 v6, v13
	v_mad_u64_u32 v[6:7], s[0:1], s3, v14, v[6:7]
	v_lshlrev_b64 v[0:1], 4, v[10:11]
	v_add_co_u32_e32 v0, vcc, v65, v0
	v_addc_co_u32_e32 v1, vcc, v66, v1, vcc
	v_mov_b32_e32 v13, v6
	global_store_dwordx4 v[0:1], v[2:5], off
	v_lshlrev_b64 v[0:1], 4, v[12:13]
	v_add_co_u32_e32 v0, vcc, v65, v0
	v_addc_co_u32_e32 v1, vcc, v66, v1, vcc
	global_store_dwordx4 v[0:1], v[34:37], off
.LBB0_15:
	s_endpgm
	.section	.rodata,"a",@progbits
	.p2align	6, 0x0
	.amdhsa_kernel fft_rtc_fwd_len784_factors_2_2_2_2_7_7_wgs_56_tpt_56_halfLds_dp_ip_CI_sbrr_dirReg
		.amdhsa_group_segment_fixed_size 0
		.amdhsa_private_segment_fixed_size 0
		.amdhsa_kernarg_size 88
		.amdhsa_user_sgpr_count 6
		.amdhsa_user_sgpr_private_segment_buffer 1
		.amdhsa_user_sgpr_dispatch_ptr 0
		.amdhsa_user_sgpr_queue_ptr 0
		.amdhsa_user_sgpr_kernarg_segment_ptr 1
		.amdhsa_user_sgpr_dispatch_id 0
		.amdhsa_user_sgpr_flat_scratch_init 0
		.amdhsa_user_sgpr_private_segment_size 0
		.amdhsa_uses_dynamic_stack 0
		.amdhsa_system_sgpr_private_segment_wavefront_offset 0
		.amdhsa_system_sgpr_workgroup_id_x 1
		.amdhsa_system_sgpr_workgroup_id_y 0
		.amdhsa_system_sgpr_workgroup_id_z 0
		.amdhsa_system_sgpr_workgroup_info 0
		.amdhsa_system_vgpr_workitem_id 0
		.amdhsa_next_free_vgpr 122
		.amdhsa_next_free_sgpr 28
		.amdhsa_reserve_vcc 1
		.amdhsa_reserve_flat_scratch 0
		.amdhsa_float_round_mode_32 0
		.amdhsa_float_round_mode_16_64 0
		.amdhsa_float_denorm_mode_32 3
		.amdhsa_float_denorm_mode_16_64 3
		.amdhsa_dx10_clamp 1
		.amdhsa_ieee_mode 1
		.amdhsa_fp16_overflow 0
		.amdhsa_exception_fp_ieee_invalid_op 0
		.amdhsa_exception_fp_denorm_src 0
		.amdhsa_exception_fp_ieee_div_zero 0
		.amdhsa_exception_fp_ieee_overflow 0
		.amdhsa_exception_fp_ieee_underflow 0
		.amdhsa_exception_fp_ieee_inexact 0
		.amdhsa_exception_int_div_zero 0
	.end_amdhsa_kernel
	.text
.Lfunc_end0:
	.size	fft_rtc_fwd_len784_factors_2_2_2_2_7_7_wgs_56_tpt_56_halfLds_dp_ip_CI_sbrr_dirReg, .Lfunc_end0-fft_rtc_fwd_len784_factors_2_2_2_2_7_7_wgs_56_tpt_56_halfLds_dp_ip_CI_sbrr_dirReg
                                        ; -- End function
	.section	.AMDGPU.csdata,"",@progbits
; Kernel info:
; codeLenInByte = 10548
; NumSgprs: 32
; NumVgprs: 122
; ScratchSize: 0
; MemoryBound: 1
; FloatMode: 240
; IeeeMode: 1
; LDSByteSize: 0 bytes/workgroup (compile time only)
; SGPRBlocks: 3
; VGPRBlocks: 30
; NumSGPRsForWavesPerEU: 32
; NumVGPRsForWavesPerEU: 122
; Occupancy: 2
; WaveLimiterHint : 1
; COMPUTE_PGM_RSRC2:SCRATCH_EN: 0
; COMPUTE_PGM_RSRC2:USER_SGPR: 6
; COMPUTE_PGM_RSRC2:TRAP_HANDLER: 0
; COMPUTE_PGM_RSRC2:TGID_X_EN: 1
; COMPUTE_PGM_RSRC2:TGID_Y_EN: 0
; COMPUTE_PGM_RSRC2:TGID_Z_EN: 0
; COMPUTE_PGM_RSRC2:TIDIG_COMP_CNT: 0
	.type	__hip_cuid_c265443e87bf012e,@object ; @__hip_cuid_c265443e87bf012e
	.section	.bss,"aw",@nobits
	.globl	__hip_cuid_c265443e87bf012e
__hip_cuid_c265443e87bf012e:
	.byte	0                               ; 0x0
	.size	__hip_cuid_c265443e87bf012e, 1

	.ident	"AMD clang version 19.0.0git (https://github.com/RadeonOpenCompute/llvm-project roc-6.4.0 25133 c7fe45cf4b819c5991fe208aaa96edf142730f1d)"
	.section	".note.GNU-stack","",@progbits
	.addrsig
	.addrsig_sym __hip_cuid_c265443e87bf012e
	.amdgpu_metadata
---
amdhsa.kernels:
  - .args:
      - .actual_access:  read_only
        .address_space:  global
        .offset:         0
        .size:           8
        .value_kind:     global_buffer
      - .offset:         8
        .size:           8
        .value_kind:     by_value
      - .actual_access:  read_only
        .address_space:  global
        .offset:         16
        .size:           8
        .value_kind:     global_buffer
      - .actual_access:  read_only
        .address_space:  global
        .offset:         24
        .size:           8
        .value_kind:     global_buffer
      - .offset:         32
        .size:           8
        .value_kind:     by_value
      - .actual_access:  read_only
        .address_space:  global
        .offset:         40
        .size:           8
        .value_kind:     global_buffer
      - .actual_access:  read_only
        .address_space:  global
        .offset:         48
        .size:           8
        .value_kind:     global_buffer
      - .offset:         56
        .size:           4
        .value_kind:     by_value
      - .actual_access:  read_only
        .address_space:  global
        .offset:         64
        .size:           8
        .value_kind:     global_buffer
      - .actual_access:  read_only
        .address_space:  global
        .offset:         72
        .size:           8
        .value_kind:     global_buffer
      - .address_space:  global
        .offset:         80
        .size:           8
        .value_kind:     global_buffer
    .group_segment_fixed_size: 0
    .kernarg_segment_align: 8
    .kernarg_segment_size: 88
    .language:       OpenCL C
    .language_version:
      - 2
      - 0
    .max_flat_workgroup_size: 56
    .name:           fft_rtc_fwd_len784_factors_2_2_2_2_7_7_wgs_56_tpt_56_halfLds_dp_ip_CI_sbrr_dirReg
    .private_segment_fixed_size: 0
    .sgpr_count:     32
    .sgpr_spill_count: 0
    .symbol:         fft_rtc_fwd_len784_factors_2_2_2_2_7_7_wgs_56_tpt_56_halfLds_dp_ip_CI_sbrr_dirReg.kd
    .uniform_work_group_size: 1
    .uses_dynamic_stack: false
    .vgpr_count:     122
    .vgpr_spill_count: 0
    .wavefront_size: 64
amdhsa.target:   amdgcn-amd-amdhsa--gfx906
amdhsa.version:
  - 1
  - 2
...

	.end_amdgpu_metadata
